;; amdgpu-corpus repo=ROCm/rocFFT kind=compiled arch=gfx906 opt=O3
	.text
	.amdgcn_target "amdgcn-amd-amdhsa--gfx906"
	.amdhsa_code_object_version 6
	.protected	fft_rtc_back_len275_factors_11_5_5_wgs_55_tpt_55_dp_ip_CI_unitstride_sbrr_dirReg ; -- Begin function fft_rtc_back_len275_factors_11_5_5_wgs_55_tpt_55_dp_ip_CI_unitstride_sbrr_dirReg
	.globl	fft_rtc_back_len275_factors_11_5_5_wgs_55_tpt_55_dp_ip_CI_unitstride_sbrr_dirReg
	.p2align	8
	.type	fft_rtc_back_len275_factors_11_5_5_wgs_55_tpt_55_dp_ip_CI_unitstride_sbrr_dirReg,@function
fft_rtc_back_len275_factors_11_5_5_wgs_55_tpt_55_dp_ip_CI_unitstride_sbrr_dirReg: ; @fft_rtc_back_len275_factors_11_5_5_wgs_55_tpt_55_dp_ip_CI_unitstride_sbrr_dirReg
; %bb.0:
	s_load_dwordx2 s[2:3], s[4:5], 0x50
	s_load_dwordx4 s[8:11], s[4:5], 0x0
	s_load_dwordx2 s[12:13], s[4:5], 0x18
	v_mul_u32_u24_e32 v1, 0x4a8, v0
	v_add_u32_sdwa v5, s6, v1 dst_sel:DWORD dst_unused:UNUSED_PAD src0_sel:DWORD src1_sel:WORD_1
	v_mov_b32_e32 v3, 0
	s_waitcnt lgkmcnt(0)
	v_cmp_lt_u64_e64 s[0:1], s[10:11], 2
	v_mov_b32_e32 v1, 0
	v_mov_b32_e32 v6, v3
	s_and_b64 vcc, exec, s[0:1]
	v_mov_b32_e32 v2, 0
	s_cbranch_vccnz .LBB0_8
; %bb.1:
	s_load_dwordx2 s[0:1], s[4:5], 0x10
	s_add_u32 s6, s12, 8
	s_addc_u32 s7, s13, 0
	v_mov_b32_e32 v1, 0
	v_mov_b32_e32 v2, 0
	s_waitcnt lgkmcnt(0)
	s_add_u32 s14, s0, 8
	s_addc_u32 s15, s1, 0
	s_mov_b64 s[16:17], 1
.LBB0_2:                                ; =>This Inner Loop Header: Depth=1
	s_load_dwordx2 s[18:19], s[14:15], 0x0
                                        ; implicit-def: $vgpr7_vgpr8
	s_waitcnt lgkmcnt(0)
	v_or_b32_e32 v4, s19, v6
	v_cmp_ne_u64_e32 vcc, 0, v[3:4]
	s_and_saveexec_b64 s[0:1], vcc
	s_xor_b64 s[20:21], exec, s[0:1]
	s_cbranch_execz .LBB0_4
; %bb.3:                                ;   in Loop: Header=BB0_2 Depth=1
	v_cvt_f32_u32_e32 v4, s18
	v_cvt_f32_u32_e32 v7, s19
	s_sub_u32 s0, 0, s18
	s_subb_u32 s1, 0, s19
	v_mac_f32_e32 v4, 0x4f800000, v7
	v_rcp_f32_e32 v4, v4
	v_mul_f32_e32 v4, 0x5f7ffffc, v4
	v_mul_f32_e32 v7, 0x2f800000, v4
	v_trunc_f32_e32 v7, v7
	v_mac_f32_e32 v4, 0xcf800000, v7
	v_cvt_u32_f32_e32 v7, v7
	v_cvt_u32_f32_e32 v4, v4
	v_mul_lo_u32 v8, s0, v7
	v_mul_hi_u32 v9, s0, v4
	v_mul_lo_u32 v11, s1, v4
	v_mul_lo_u32 v10, s0, v4
	v_add_u32_e32 v8, v9, v8
	v_add_u32_e32 v8, v8, v11
	v_mul_hi_u32 v9, v4, v10
	v_mul_lo_u32 v11, v4, v8
	v_mul_hi_u32 v13, v4, v8
	v_mul_hi_u32 v12, v7, v10
	v_mul_lo_u32 v10, v7, v10
	v_mul_hi_u32 v14, v7, v8
	v_add_co_u32_e32 v9, vcc, v9, v11
	v_addc_co_u32_e32 v11, vcc, 0, v13, vcc
	v_mul_lo_u32 v8, v7, v8
	v_add_co_u32_e32 v9, vcc, v9, v10
	v_addc_co_u32_e32 v9, vcc, v11, v12, vcc
	v_addc_co_u32_e32 v10, vcc, 0, v14, vcc
	v_add_co_u32_e32 v8, vcc, v9, v8
	v_addc_co_u32_e32 v9, vcc, 0, v10, vcc
	v_add_co_u32_e32 v4, vcc, v4, v8
	v_addc_co_u32_e32 v7, vcc, v7, v9, vcc
	v_mul_lo_u32 v8, s0, v7
	v_mul_hi_u32 v9, s0, v4
	v_mul_lo_u32 v10, s1, v4
	v_mul_lo_u32 v11, s0, v4
	v_add_u32_e32 v8, v9, v8
	v_add_u32_e32 v8, v8, v10
	v_mul_lo_u32 v12, v4, v8
	v_mul_hi_u32 v13, v4, v11
	v_mul_hi_u32 v14, v4, v8
	;; [unrolled: 1-line block ×3, first 2 shown]
	v_mul_lo_u32 v11, v7, v11
	v_mul_hi_u32 v9, v7, v8
	v_add_co_u32_e32 v12, vcc, v13, v12
	v_addc_co_u32_e32 v13, vcc, 0, v14, vcc
	v_mul_lo_u32 v8, v7, v8
	v_add_co_u32_e32 v11, vcc, v12, v11
	v_addc_co_u32_e32 v10, vcc, v13, v10, vcc
	v_addc_co_u32_e32 v9, vcc, 0, v9, vcc
	v_add_co_u32_e32 v8, vcc, v10, v8
	v_addc_co_u32_e32 v9, vcc, 0, v9, vcc
	v_add_co_u32_e32 v4, vcc, v4, v8
	v_addc_co_u32_e32 v9, vcc, v7, v9, vcc
	v_mad_u64_u32 v[7:8], s[0:1], v5, v9, 0
	v_mul_hi_u32 v10, v5, v4
	v_add_co_u32_e32 v11, vcc, v10, v7
	v_addc_co_u32_e32 v12, vcc, 0, v8, vcc
	v_mad_u64_u32 v[7:8], s[0:1], v6, v4, 0
	v_mad_u64_u32 v[9:10], s[0:1], v6, v9, 0
	v_add_co_u32_e32 v4, vcc, v11, v7
	v_addc_co_u32_e32 v4, vcc, v12, v8, vcc
	v_addc_co_u32_e32 v7, vcc, 0, v10, vcc
	v_add_co_u32_e32 v4, vcc, v4, v9
	v_addc_co_u32_e32 v9, vcc, 0, v7, vcc
	v_mul_lo_u32 v10, s19, v4
	v_mul_lo_u32 v11, s18, v9
	v_mad_u64_u32 v[7:8], s[0:1], s18, v4, 0
	v_add3_u32 v8, v8, v11, v10
	v_sub_u32_e32 v10, v6, v8
	v_mov_b32_e32 v11, s19
	v_sub_co_u32_e32 v7, vcc, v5, v7
	v_subb_co_u32_e64 v10, s[0:1], v10, v11, vcc
	v_subrev_co_u32_e64 v11, s[0:1], s18, v7
	v_subbrev_co_u32_e64 v10, s[0:1], 0, v10, s[0:1]
	v_cmp_le_u32_e64 s[0:1], s19, v10
	v_cndmask_b32_e64 v12, 0, -1, s[0:1]
	v_cmp_le_u32_e64 s[0:1], s18, v11
	v_cndmask_b32_e64 v11, 0, -1, s[0:1]
	v_cmp_eq_u32_e64 s[0:1], s19, v10
	v_cndmask_b32_e64 v10, v12, v11, s[0:1]
	v_add_co_u32_e64 v11, s[0:1], 2, v4
	v_addc_co_u32_e64 v12, s[0:1], 0, v9, s[0:1]
	v_add_co_u32_e64 v13, s[0:1], 1, v4
	v_addc_co_u32_e64 v14, s[0:1], 0, v9, s[0:1]
	v_subb_co_u32_e32 v8, vcc, v6, v8, vcc
	v_cmp_ne_u32_e64 s[0:1], 0, v10
	v_cmp_le_u32_e32 vcc, s19, v8
	v_cndmask_b32_e64 v10, v14, v12, s[0:1]
	v_cndmask_b32_e64 v12, 0, -1, vcc
	v_cmp_le_u32_e32 vcc, s18, v7
	v_cndmask_b32_e64 v7, 0, -1, vcc
	v_cmp_eq_u32_e32 vcc, s19, v8
	v_cndmask_b32_e32 v7, v12, v7, vcc
	v_cmp_ne_u32_e32 vcc, 0, v7
	v_cndmask_b32_e64 v7, v13, v11, s[0:1]
	v_cndmask_b32_e32 v8, v9, v10, vcc
	v_cndmask_b32_e32 v7, v4, v7, vcc
.LBB0_4:                                ;   in Loop: Header=BB0_2 Depth=1
	s_andn2_saveexec_b64 s[0:1], s[20:21]
	s_cbranch_execz .LBB0_6
; %bb.5:                                ;   in Loop: Header=BB0_2 Depth=1
	v_cvt_f32_u32_e32 v4, s18
	s_sub_i32 s20, 0, s18
	v_rcp_iflag_f32_e32 v4, v4
	v_mul_f32_e32 v4, 0x4f7ffffe, v4
	v_cvt_u32_f32_e32 v4, v4
	v_mul_lo_u32 v7, s20, v4
	v_mul_hi_u32 v7, v4, v7
	v_add_u32_e32 v4, v4, v7
	v_mul_hi_u32 v4, v5, v4
	v_mul_lo_u32 v7, v4, s18
	v_add_u32_e32 v8, 1, v4
	v_sub_u32_e32 v7, v5, v7
	v_subrev_u32_e32 v9, s18, v7
	v_cmp_le_u32_e32 vcc, s18, v7
	v_cndmask_b32_e32 v7, v7, v9, vcc
	v_cndmask_b32_e32 v4, v4, v8, vcc
	v_add_u32_e32 v8, 1, v4
	v_cmp_le_u32_e32 vcc, s18, v7
	v_cndmask_b32_e32 v7, v4, v8, vcc
	v_mov_b32_e32 v8, v3
.LBB0_6:                                ;   in Loop: Header=BB0_2 Depth=1
	s_or_b64 exec, exec, s[0:1]
	v_mul_lo_u32 v4, v8, s18
	v_mul_lo_u32 v11, v7, s19
	v_mad_u64_u32 v[9:10], s[0:1], v7, s18, 0
	s_load_dwordx2 s[0:1], s[6:7], 0x0
	s_add_u32 s16, s16, 1
	v_add3_u32 v4, v10, v11, v4
	v_sub_co_u32_e32 v5, vcc, v5, v9
	v_subb_co_u32_e32 v4, vcc, v6, v4, vcc
	s_waitcnt lgkmcnt(0)
	v_mul_lo_u32 v4, s0, v4
	v_mul_lo_u32 v6, s1, v5
	v_mad_u64_u32 v[1:2], s[0:1], s0, v5, v[1:2]
	s_addc_u32 s17, s17, 0
	s_add_u32 s6, s6, 8
	v_add3_u32 v2, v6, v2, v4
	v_mov_b32_e32 v4, s10
	v_mov_b32_e32 v5, s11
	s_addc_u32 s7, s7, 0
	v_cmp_ge_u64_e32 vcc, s[16:17], v[4:5]
	s_add_u32 s14, s14, 8
	s_addc_u32 s15, s15, 0
	s_cbranch_vccnz .LBB0_9
; %bb.7:                                ;   in Loop: Header=BB0_2 Depth=1
	v_mov_b32_e32 v5, v7
	v_mov_b32_e32 v6, v8
	s_branch .LBB0_2
.LBB0_8:
	v_mov_b32_e32 v8, v6
	v_mov_b32_e32 v7, v5
.LBB0_9:
	s_lshl_b64 s[0:1], s[10:11], 3
	s_add_u32 s0, s12, s0
	s_addc_u32 s1, s13, s1
	s_load_dwordx2 s[6:7], s[0:1], 0x0
	s_load_dwordx2 s[10:11], s[4:5], 0x20
	v_mov_b32_e32 v47, 0
                                        ; implicit-def: $vgpr18_vgpr19
                                        ; implicit-def: $vgpr26_vgpr27
                                        ; implicit-def: $vgpr30_vgpr31
                                        ; implicit-def: $vgpr10_vgpr11
                                        ; implicit-def: $vgpr34_vgpr35
                                        ; implicit-def: $vgpr42_vgpr43
                                        ; implicit-def: $vgpr38_vgpr39
                                        ; implicit-def: $vgpr22_vgpr23
                                        ; implicit-def: $vgpr14_vgpr15
	s_waitcnt lgkmcnt(0)
	v_mad_u64_u32 v[44:45], s[0:1], s6, v7, v[1:2]
	s_mov_b32 s0, 0x4a7904b
	v_mul_hi_u32 v1, v0, s0
	v_mul_lo_u32 v3, s6, v8
	v_mul_lo_u32 v4, s7, v7
	v_cmp_gt_u64_e32 vcc, s[10:11], v[7:8]
	v_mul_u32_u24_e32 v1, 55, v1
	v_sub_u32_e32 v46, v0, v1
	v_add3_u32 v45, v4, v45, v3
                                        ; implicit-def: $vgpr6_vgpr7
                                        ; implicit-def: $vgpr2_vgpr3
	s_and_saveexec_b64 s[4:5], vcc
	s_cbranch_execz .LBB0_13
; %bb.10:
	v_cmp_gt_u32_e64 s[0:1], 25, v46
                                        ; implicit-def: $vgpr0_vgpr1
                                        ; implicit-def: $vgpr12_vgpr13
                                        ; implicit-def: $vgpr20_vgpr21
                                        ; implicit-def: $vgpr36_vgpr37
                                        ; implicit-def: $vgpr4_vgpr5
                                        ; implicit-def: $vgpr40_vgpr41
                                        ; implicit-def: $vgpr32_vgpr33
                                        ; implicit-def: $vgpr8_vgpr9
                                        ; implicit-def: $vgpr28_vgpr29
                                        ; implicit-def: $vgpr24_vgpr25
                                        ; implicit-def: $vgpr16_vgpr17
	s_and_saveexec_b64 s[6:7], s[0:1]
	s_cbranch_execz .LBB0_12
; %bb.11:
	v_lshlrev_b64 v[0:1], 4, v[44:45]
	v_mov_b32_e32 v47, 0
	v_mov_b32_e32 v2, s3
	v_add_co_u32_e64 v3, s[0:1], s2, v0
	v_addc_co_u32_e64 v2, s[0:1], v2, v1, s[0:1]
	v_lshlrev_b64 v[0:1], 4, v[46:47]
	v_add_co_u32_e64 v47, s[0:1], v3, v0
	v_addc_co_u32_e64 v48, s[0:1], v2, v1, s[0:1]
	global_load_dwordx4 v[0:3], v[47:48], off
	global_load_dwordx4 v[12:15], v[47:48], off offset:400
	global_load_dwordx4 v[20:23], v[47:48], off offset:800
	global_load_dwordx4 v[36:39], v[47:48], off offset:1200
	global_load_dwordx4 v[4:7], v[47:48], off offset:1600
	global_load_dwordx4 v[40:43], v[47:48], off offset:2000
	global_load_dwordx4 v[32:35], v[47:48], off offset:2400
	global_load_dwordx4 v[8:11], v[47:48], off offset:2800
	global_load_dwordx4 v[28:31], v[47:48], off offset:3200
	global_load_dwordx4 v[24:27], v[47:48], off offset:3600
	global_load_dwordx4 v[16:19], v[47:48], off offset:4000
.LBB0_12:
	s_or_b64 exec, exec, s[6:7]
	v_mov_b32_e32 v47, v46
.LBB0_13:
	s_or_b64 exec, exec, s[4:5]
	v_cmp_gt_u32_e64 s[0:1], 25, v46
	s_and_saveexec_b64 s[4:5], s[0:1]
	s_cbranch_execz .LBB0_15
; %bb.14:
	s_waitcnt vmcnt(9)
	v_add_f64 v[58:59], v[14:15], v[2:3]
	v_add_f64 v[60:61], v[12:13], v[0:1]
	s_waitcnt vmcnt(3)
	v_add_f64 v[62:63], v[4:5], -v[8:9]
	v_add_f64 v[68:69], v[8:9], v[4:5]
	s_waitcnt vmcnt(0)
	v_add_f64 v[74:75], v[12:13], -v[16:17]
	v_add_f64 v[80:81], v[16:17], v[12:13]
	s_mov_b32 s10, 0xfd768dbf
	s_mov_b32 s11, 0xbfd207e7
	v_add_f64 v[58:59], v[22:23], v[58:59]
	v_add_f64 v[60:61], v[20:21], v[60:61]
	;; [unrolled: 1-line block ×3, first 2 shown]
	v_add_f64 v[50:51], v[42:43], -v[34:35]
	v_add_f64 v[70:71], v[20:21], -v[24:25]
	v_add_f64 v[76:77], v[18:19], v[14:15]
	s_mov_b32 s0, 0xf8bb580b
	s_mov_b32 s6, 0x9bcd5057
	v_add_f64 v[58:59], v[38:39], v[58:59]
	v_add_f64 v[60:61], v[36:37], v[60:61]
	s_mov_b32 s1, 0x3fe14ced
	s_mov_b32 s7, 0xbfeeb42a
	v_add_f64 v[54:55], v[40:41], -v[32:33]
	v_add_f64 v[52:53], v[32:33], v[40:41]
	v_add_f64 v[64:65], v[36:37], -v[28:29]
	v_add_f64 v[72:73], v[26:27], v[22:23]
	v_add_f64 v[58:59], v[6:7], v[58:59]
	;; [unrolled: 1-line block ×4, first 2 shown]
	v_add_f64 v[78:79], v[22:23], -v[26:27]
	v_mul_f64 v[20:21], v[70:71], s[0:1]
	s_mov_b32 s22, 0xbb3a28a1
	s_mov_b32 s12, 0x8764f0ba
	;; [unrolled: 1-line block ×3, first 2 shown]
	v_add_f64 v[12:13], v[42:43], v[58:59]
	v_add_f64 v[4:5], v[40:41], v[4:5]
	v_add_f64 v[42:43], v[14:15], -v[18:19]
	v_mul_f64 v[14:15], v[74:75], s[10:11]
	s_mov_b32 s13, 0x3feaeb8c
	s_mov_b32 s15, 0x3fd207e7
	;; [unrolled: 1-line block ×3, first 2 shown]
	v_add_f64 v[66:67], v[30:31], v[38:39]
	v_add_f64 v[12:13], v[34:35], v[12:13]
	;; [unrolled: 1-line block ×3, first 2 shown]
	v_mul_f64 v[32:33], v[80:81], s[6:7]
	v_fma_f64 v[22:23], v[76:77], s[6:7], v[14:15]
	v_add_f64 v[38:39], v[38:39], -v[30:31]
	v_fma_f64 v[34:35], v[72:73], s[12:13], v[20:21]
	s_mov_b32 s16, 0x7f775887
	s_mov_b32 s20, 0x8eee2c13
	v_add_f64 v[12:13], v[10:11], v[12:13]
	v_add_f64 v[4:5], v[8:9], v[4:5]
	v_mul_f64 v[8:9], v[64:65], s[22:23]
	v_add_f64 v[22:23], v[2:3], v[22:23]
	v_fma_f64 v[40:41], v[42:43], s[14:15], v[32:33]
	s_mov_b32 s17, 0xbfe4f49e
	s_mov_b32 s21, 0x3fed1bb4
	;; [unrolled: 1-line block ×3, first 2 shown]
	v_add_f64 v[12:13], v[30:31], v[12:13]
	v_mul_f64 v[30:31], v[60:61], s[12:13]
	v_add_f64 v[4:5], v[28:29], v[4:5]
	s_mov_b32 s18, s0
	v_add_f64 v[56:57], v[10:11], v[6:7]
	v_add_f64 v[36:37], v[28:29], v[36:37]
	v_fma_f64 v[28:29], v[66:67], s[16:17], v[8:9]
	v_add_f64 v[22:23], v[34:35], v[22:23]
	v_mul_f64 v[34:35], v[62:63], s[20:21]
	v_fma_f64 v[58:59], v[78:79], s[18:19], v[30:31]
	v_add_f64 v[40:41], v[0:1], v[40:41]
	v_add_f64 v[4:5], v[24:25], v[4:5]
	s_mov_b32 s26, 0xd9c712b6
	s_mov_b32 s27, 0x3fda9628
	v_add_f64 v[12:13], v[26:27], v[12:13]
	v_mul_f64 v[24:25], v[36:37], s[16:17]
	v_add_f64 v[22:23], v[28:29], v[22:23]
	v_fma_f64 v[26:27], v[56:57], s[26:27], v[34:35]
	v_add_f64 v[28:29], v[58:59], v[40:41]
	v_add_f64 v[58:59], v[6:7], -v[10:11]
	v_fma_f64 v[10:11], v[76:77], s[6:7], -v[14:15]
	v_add_f64 v[4:5], v[16:17], v[4:5]
	v_fma_f64 v[16:17], v[42:43], s[10:11], v[32:33]
	s_mov_b32 s25, 0x3fe82f19
	s_mov_b32 s24, s22
	v_fma_f64 v[40:41], v[38:39], s[24:25], v[24:25]
	v_add_f64 v[6:7], v[18:19], v[12:13]
	v_mul_f64 v[12:13], v[68:69], s[26:27]
	v_add_f64 v[14:15], v[26:27], v[22:23]
	v_fma_f64 v[20:21], v[72:73], s[12:13], -v[20:21]
	v_add_f64 v[10:11], v[2:3], v[10:11]
	v_fma_f64 v[26:27], v[78:79], s[0:1], v[30:31]
	v_add_f64 v[16:17], v[0:1], v[16:17]
	s_mov_b32 s34, 0x43842ef
	s_mov_b32 s28, 0x640f44db
	;; [unrolled: 1-line block ×6, first 2 shown]
	v_add_f64 v[18:19], v[40:41], v[28:29]
	v_fma_f64 v[22:23], v[58:59], s[36:37], v[12:13]
	v_add_f64 v[10:11], v[20:21], v[10:11]
	v_mul_f64 v[20:21], v[54:55], s[34:35]
	v_fma_f64 v[8:9], v[66:67], s[16:17], -v[8:9]
	v_add_f64 v[16:17], v[26:27], v[16:17]
	v_mul_f64 v[26:27], v[52:53], s[28:29]
	v_fma_f64 v[24:25], v[38:39], s[22:23], v[24:25]
	v_mul_f64 v[28:29], v[74:75], s[22:23]
	s_mov_b32 s31, 0x3fefac9e
	s_mov_b32 s30, s34
	v_add_f64 v[18:19], v[22:23], v[18:19]
	v_fma_f64 v[22:23], v[48:49], s[28:29], v[20:21]
	v_add_f64 v[30:31], v[8:9], v[10:11]
	v_fma_f64 v[8:9], v[50:51], s[30:31], v[26:27]
	v_fma_f64 v[32:33], v[56:57], s[26:27], -v[34:35]
	v_mul_f64 v[34:35], v[80:81], s[16:17]
	v_add_f64 v[16:17], v[24:25], v[16:17]
	v_fma_f64 v[24:25], v[76:77], s[16:17], v[28:29]
	v_mul_f64 v[40:41], v[70:71], s[30:31]
	v_fma_f64 v[12:13], v[58:59], s[20:21], v[12:13]
	v_add_f64 v[10:11], v[22:23], v[14:15]
	v_add_f64 v[8:9], v[8:9], v[18:19]
	v_add_f64 v[14:15], v[32:33], v[30:31]
	v_fma_f64 v[18:19], v[42:43], s[24:25], v[34:35]
	v_mul_f64 v[22:23], v[60:61], s[28:29]
	v_add_f64 v[24:25], v[2:3], v[24:25]
	v_fma_f64 v[30:31], v[72:73], s[28:29], v[40:41]
	v_mul_f64 v[32:33], v[64:65], s[18:19]
	v_fma_f64 v[20:21], v[48:49], s[28:29], -v[20:21]
	v_add_f64 v[12:13], v[12:13], v[16:17]
	v_fma_f64 v[16:17], v[50:51], s[34:35], v[26:27]
	v_add_f64 v[18:19], v[0:1], v[18:19]
	v_fma_f64 v[26:27], v[78:79], s[34:35], v[22:23]
	v_mul_f64 v[82:83], v[36:37], s[12:13]
	v_add_f64 v[24:25], v[30:31], v[24:25]
	v_fma_f64 v[30:31], v[66:67], s[12:13], v[32:33]
	v_add_f64 v[14:15], v[20:21], v[14:15]
	v_fma_f64 v[20:21], v[76:77], s[16:17], -v[28:29]
	v_fma_f64 v[34:35], v[42:43], s[22:23], v[34:35]
	v_mul_f64 v[28:29], v[62:63], s[10:11]
	v_add_f64 v[18:19], v[26:27], v[18:19]
	v_fma_f64 v[26:27], v[38:39], s[0:1], v[82:83]
	v_mul_f64 v[84:85], v[68:69], s[6:7]
	v_add_f64 v[24:25], v[30:31], v[24:25]
	v_fma_f64 v[30:31], v[72:73], s[28:29], -v[40:41]
	v_add_f64 v[20:21], v[2:3], v[20:21]
	v_fma_f64 v[22:23], v[78:79], s[30:31], v[22:23]
	v_add_f64 v[34:35], v[0:1], v[34:35]
	v_fma_f64 v[40:41], v[56:57], s[6:7], v[28:29]
	;; [unrolled: 2-line block ×3, first 2 shown]
	v_mul_f64 v[86:87], v[54:55], s[20:21]
	v_mul_f64 v[88:89], v[52:53], s[26:27]
	v_add_f64 v[20:21], v[30:31], v[20:21]
	v_fma_f64 v[30:31], v[66:67], s[12:13], -v[32:33]
	v_add_f64 v[22:23], v[22:23], v[34:35]
	v_fma_f64 v[32:33], v[38:39], s[18:19], v[82:83]
	v_mul_f64 v[34:35], v[74:75], s[34:35]
	v_add_f64 v[24:25], v[40:41], v[24:25]
	v_add_f64 v[26:27], v[26:27], v[18:19]
	v_fma_f64 v[18:19], v[48:49], s[26:27], v[86:87]
	v_fma_f64 v[40:41], v[50:51], s[36:37], v[88:89]
	v_add_f64 v[20:21], v[30:31], v[20:21]
	v_fma_f64 v[28:29], v[56:57], s[6:7], -v[28:29]
	v_add_f64 v[22:23], v[32:33], v[22:23]
	v_fma_f64 v[30:31], v[76:77], s[28:29], v[34:35]
	v_mul_f64 v[32:33], v[70:71], s[14:15]
	v_fma_f64 v[82:83], v[58:59], s[10:11], v[84:85]
	v_mul_f64 v[84:85], v[80:81], s[28:29]
	v_add_f64 v[12:13], v[16:17], v[12:13]
	v_add_f64 v[18:19], v[18:19], v[24:25]
	;; [unrolled: 1-line block ×3, first 2 shown]
	v_fma_f64 v[34:35], v[76:77], s[28:29], -v[34:35]
	v_add_f64 v[24:25], v[2:3], v[30:31]
	v_fma_f64 v[26:27], v[72:73], s[6:7], v[32:33]
	v_add_f64 v[20:21], v[28:29], v[20:21]
	v_add_f64 v[28:29], v[82:83], v[22:23]
	v_fma_f64 v[22:23], v[42:43], s[30:31], v[84:85]
	v_mul_f64 v[30:31], v[60:61], s[6:7]
	v_mul_f64 v[82:83], v[64:65], s[20:21]
	v_fma_f64 v[32:33], v[72:73], s[6:7], -v[32:33]
	v_add_f64 v[34:35], v[2:3], v[34:35]
	v_add_f64 v[24:25], v[26:27], v[24:25]
	v_fma_f64 v[26:27], v[42:43], s[34:35], v[84:85]
	v_fma_f64 v[40:41], v[48:49], s[26:27], -v[86:87]
	v_fma_f64 v[86:87], v[50:51], s[20:21], v[88:89]
	v_add_f64 v[22:23], v[0:1], v[22:23]
	v_fma_f64 v[84:85], v[78:79], s[10:11], v[30:31]
	v_mul_f64 v[88:89], v[36:37], s[26:27]
	v_fma_f64 v[90:91], v[66:67], s[26:27], v[82:83]
	v_fma_f64 v[30:31], v[78:79], s[14:15], v[30:31]
	v_add_f64 v[26:27], v[0:1], v[26:27]
	v_mul_f64 v[92:93], v[62:63], s[18:19]
	v_add_f64 v[32:33], v[32:33], v[34:35]
	v_fma_f64 v[34:35], v[66:67], s[26:27], -v[82:83]
	v_add_f64 v[22:23], v[84:85], v[22:23]
	v_fma_f64 v[84:85], v[38:39], s[36:37], v[88:89]
	v_mul_f64 v[94:95], v[68:69], s[12:13]
	v_add_f64 v[24:25], v[90:91], v[24:25]
	v_add_f64 v[26:27], v[30:31], v[26:27]
	v_fma_f64 v[30:31], v[38:39], s[20:21], v[88:89]
	v_mul_f64 v[90:91], v[54:55], s[22:23]
	v_add_f64 v[32:33], v[34:35], v[32:33]
	v_fma_f64 v[34:35], v[56:57], s[12:13], -v[92:93]
	v_fma_f64 v[82:83], v[56:57], s[12:13], v[92:93]
	v_add_f64 v[84:85], v[84:85], v[22:23]
	v_fma_f64 v[88:89], v[58:59], s[0:1], v[94:95]
	v_mul_f64 v[96:97], v[52:53], s[16:17]
	v_add_f64 v[26:27], v[30:31], v[26:27]
	v_fma_f64 v[30:31], v[58:59], s[18:19], v[94:95]
	v_add_f64 v[22:23], v[40:41], v[20:21]
	v_add_f64 v[32:33], v[34:35], v[32:33]
	v_fma_f64 v[34:35], v[48:49], s[16:17], -v[90:91]
	v_add_f64 v[24:25], v[82:83], v[24:25]
	v_add_f64 v[40:41], v[88:89], v[84:85]
	v_fma_f64 v[82:83], v[48:49], s[16:17], v[90:91]
	v_fma_f64 v[84:85], v[50:51], s[24:25], v[96:97]
	v_add_f64 v[88:89], v[30:31], v[26:27]
	v_add_f64 v[20:21], v[86:87], v[28:29]
	v_mul_f64 v[86:87], v[74:75], s[18:19]
	v_mul_f64 v[74:75], v[74:75], s[36:37]
	v_add_f64 v[30:31], v[34:35], v[32:33]
	v_mul_f64 v[32:33], v[80:81], s[26:27]
	v_add_f64 v[26:27], v[82:83], v[24:25]
	v_add_f64 v[24:25], v[84:85], v[40:41]
	v_mul_f64 v[34:35], v[80:81], s[12:13]
	v_fma_f64 v[90:91], v[50:51], s[22:23], v[96:97]
	v_fma_f64 v[40:41], v[76:77], s[12:13], -v[86:87]
	v_fma_f64 v[82:83], v[76:77], s[26:27], v[74:75]
	v_fma_f64 v[74:75], v[76:77], s[26:27], -v[74:75]
	v_fma_f64 v[84:85], v[42:43], s[20:21], v[32:33]
	v_fma_f64 v[76:77], v[76:77], s[12:13], v[86:87]
	;; [unrolled: 1-line block ×5, first 2 shown]
	v_mul_f64 v[80:81], v[70:71], s[36:37]
	v_add_f64 v[42:43], v[2:3], v[82:83]
	v_mul_f64 v[70:71], v[70:71], s[22:23]
	v_add_f64 v[82:83], v[0:1], v[84:85]
	v_mul_f64 v[84:85], v[60:61], s[26:27]
	v_mul_f64 v[60:61], v[60:61], s[16:17]
	v_add_f64 v[28:29], v[90:91], v[88:89]
	v_add_f64 v[34:35], v[0:1], v[34:35]
	v_mul_f64 v[90:91], v[64:65], s[34:35]
	v_add_f64 v[74:75], v[2:3], v[74:75]
	v_fma_f64 v[96:97], v[72:73], s[16:17], v[70:71]
	v_mul_f64 v[64:65], v[64:65], s[14:15]
	v_fma_f64 v[94:95], v[78:79], s[36:37], v[84:85]
	v_fma_f64 v[70:71], v[72:73], s[16:17], -v[70:71]
	v_add_f64 v[40:41], v[2:3], v[40:41]
	v_add_f64 v[32:33], v[0:1], v[32:33]
	;; [unrolled: 1-line block ×3, first 2 shown]
	v_mul_f64 v[76:77], v[36:37], s[28:29]
	v_mul_f64 v[36:37], v[36:37], s[6:7]
	;; [unrolled: 1-line block ×3, first 2 shown]
	v_add_f64 v[34:35], v[94:95], v[34:35]
	v_fma_f64 v[94:95], v[78:79], s[24:25], v[60:61]
	v_fma_f64 v[60:61], v[78:79], s[22:23], v[60:61]
	v_add_f64 v[42:43], v[96:97], v[42:43]
	v_fma_f64 v[96:97], v[66:67], s[6:7], v[64:65]
	v_mul_f64 v[62:63], v[62:63], s[30:31]
	v_add_f64 v[70:71], v[70:71], v[74:75]
	v_fma_f64 v[64:65], v[66:67], s[6:7], -v[64:65]
	v_fma_f64 v[88:89], v[72:73], s[26:27], -v[80:81]
	v_add_f64 v[82:83], v[94:95], v[82:83]
	v_fma_f64 v[94:95], v[38:39], s[10:11], v[36:37]
	v_add_f64 v[32:33], v[60:61], v[32:33]
	v_fma_f64 v[36:37], v[38:39], s[14:15], v[36:37]
	;; [unrolled: 2-line block ×3, first 2 shown]
	v_add_f64 v[64:65], v[64:65], v[70:71]
	v_fma_f64 v[62:63], v[56:57], s[28:29], -v[62:63]
	v_fma_f64 v[60:61], v[72:73], s[26:27], v[80:81]
	v_add_f64 v[0:1], v[0:1], v[86:87]
	v_add_f64 v[40:41], v[88:89], v[40:41]
	v_add_f64 v[32:33], v[36:37], v[32:33]
	v_fma_f64 v[36:37], v[78:79], s[20:21], v[84:85]
	v_fma_f64 v[88:89], v[66:67], s[28:29], -v[90:91]
	v_fma_f64 v[98:99], v[38:39], s[34:35], v[76:77]
	v_mul_f64 v[100:101], v[68:69], s[16:17]
	v_mul_f64 v[68:69], v[68:69], s[28:29]
	v_add_f64 v[62:63], v[62:63], v[64:65]
	v_fma_f64 v[64:65], v[66:67], s[28:29], v[90:91]
	v_add_f64 v[2:3], v[60:61], v[2:3]
	v_fma_f64 v[38:39], v[38:39], s[30:31], v[76:77]
	v_add_f64 v[0:1], v[36:37], v[0:1]
	v_add_f64 v[40:41], v[88:89], v[40:41]
	v_fma_f64 v[88:89], v[56:57], s[16:17], -v[92:93]
	v_add_f64 v[34:35], v[98:99], v[34:35]
	v_fma_f64 v[74:75], v[58:59], s[22:23], v[100:101]
	v_mul_f64 v[66:67], v[54:55], s[10:11]
	v_mul_f64 v[60:61], v[52:53], s[6:7]
	v_add_f64 v[82:83], v[94:95], v[82:83]
	v_fma_f64 v[94:95], v[58:59], s[34:35], v[68:69]
	v_fma_f64 v[68:69], v[58:59], s[30:31], v[68:69]
	v_mul_f64 v[36:37], v[54:55], s[0:1]
	v_mul_f64 v[52:53], v[52:53], s[12:13]
	v_fma_f64 v[56:57], v[56:57], s[16:17], v[92:93]
	v_add_f64 v[2:3], v[64:65], v[2:3]
	v_fma_f64 v[58:59], v[58:59], s[24:25], v[100:101]
	v_add_f64 v[0:1], v[38:39], v[0:1]
	v_add_f64 v[40:41], v[88:89], v[40:41]
	;; [unrolled: 1-line block ×3, first 2 shown]
	v_fma_f64 v[54:55], v[48:49], s[6:7], -v[66:67]
	v_fma_f64 v[64:65], v[50:51], s[10:11], v[60:61]
	v_add_f64 v[42:43], v[96:97], v[42:43]
	v_add_f64 v[32:33], v[68:69], v[32:33]
	v_fma_f64 v[38:39], v[48:49], s[12:13], v[36:37]
	v_fma_f64 v[36:37], v[48:49], s[12:13], -v[36:37]
	v_fma_f64 v[48:49], v[48:49], s[6:7], v[66:67]
	v_fma_f64 v[66:67], v[50:51], s[0:1], v[52:53]
	v_add_f64 v[56:57], v[56:57], v[2:3]
	v_add_f64 v[70:71], v[94:95], v[82:83]
	v_fma_f64 v[52:53], v[50:51], s[18:19], v[52:53]
	v_fma_f64 v[50:51], v[50:51], s[14:15], v[60:61]
	v_add_f64 v[58:59], v[58:59], v[0:1]
	v_add_f64 v[2:3], v[54:55], v[40:41]
	;; [unrolled: 1-line block ×6, first 2 shown]
	s_movk_i32 s0, 0xb0
	v_add_f64 v[42:43], v[48:49], v[56:57]
	v_mad_u32_u24 v48, v46, s0, 0
	v_add_f64 v[32:33], v[52:53], v[70:71]
	v_add_f64 v[40:41], v[50:51], v[58:59]
	ds_write_b128 v48, v[4:7]
	ds_write_b128 v48, v[0:3] offset:16
	ds_write_b128 v48, v[36:39] offset:32
	;; [unrolled: 1-line block ×10, first 2 shown]
.LBB0_15:
	s_or_b64 exec, exec, s[4:5]
	s_movk_i32 s0, 0x75
	s_waitcnt vmcnt(10)
	v_mul_lo_u16_sdwa v0, v46, s0 dst_sel:DWORD dst_unused:UNUSED_PAD src0_sel:BYTE_0 src1_sel:DWORD
	v_sub_u16_sdwa v1, v46, v0 dst_sel:DWORD dst_unused:UNUSED_PAD src0_sel:DWORD src1_sel:BYTE_1
	v_lshrrev_b16_e32 v1, 1, v1
	v_and_b32_e32 v1, 0x7f, v1
	v_add_u16_sdwa v0, v1, v0 dst_sel:DWORD dst_unused:UNUSED_PAD src0_sel:DWORD src1_sel:BYTE_1
	s_waitcnt vmcnt(5)
	v_lshrrev_b16_e32 v43, 3, v0
	v_mul_lo_u16_e32 v0, 11, v43
	v_sub_u16_e32 v50, v46, v0
	v_mov_b32_e32 v0, 6
	v_lshlrev_b32_sdwa v0, v0, v50 dst_sel:DWORD dst_unused:UNUSED_PAD src0_sel:DWORD src1_sel:BYTE_0
	s_waitcnt lgkmcnt(0)
	; wave barrier
	s_waitcnt lgkmcnt(0)
	global_load_dwordx4 v[1:4], v0, s[8:9]
	global_load_dwordx4 v[5:8], v0, s[8:9] offset:16
	global_load_dwordx4 v[9:12], v0, s[8:9] offset:32
	;; [unrolled: 1-line block ×3, first 2 shown]
	v_lshl_add_u32 v0, v46, 4, 0
	s_waitcnt vmcnt(4)
	ds_read_b128 v[17:20], v0
	ds_read_b128 v[21:24], v0 offset:880
	ds_read_b128 v[25:28], v0 offset:1760
	;; [unrolled: 1-line block ×4, first 2 shown]
	v_mov_b32_e32 v51, 4
	v_lshlrev_b32_sdwa v58, v51, v50 dst_sel:DWORD dst_unused:UNUSED_PAD src0_sel:DWORD src1_sel:BYTE_0
	s_mov_b32 s6, 0x134454ff
	s_mov_b32 s7, 0xbfee6f0e
	;; [unrolled: 1-line block ×10, first 2 shown]
	v_mul_u32_u24_e32 v43, 0x370, v43
	s_waitcnt lgkmcnt(0)
	; wave barrier
	s_waitcnt vmcnt(3) lgkmcnt(0)
	v_mul_f64 v[37:38], v[23:24], v[3:4]
	v_mul_f64 v[3:4], v[21:22], v[3:4]
	s_waitcnt vmcnt(2)
	v_mul_f64 v[39:40], v[27:28], v[7:8]
	v_mul_f64 v[7:8], v[25:26], v[7:8]
	s_waitcnt vmcnt(1)
	v_mul_f64 v[41:42], v[31:32], v[11:12]
	s_waitcnt vmcnt(0)
	v_mul_f64 v[48:49], v[33:34], v[15:16]
	v_mul_f64 v[11:12], v[29:30], v[11:12]
	;; [unrolled: 1-line block ×3, first 2 shown]
	v_fma_f64 v[21:22], v[21:22], v[1:2], v[37:38]
	v_fma_f64 v[1:2], v[23:24], v[1:2], -v[3:4]
	v_fma_f64 v[3:4], v[25:26], v[5:6], v[39:40]
	v_fma_f64 v[5:6], v[27:28], v[5:6], -v[7:8]
	;; [unrolled: 2-line block ×3, first 2 shown]
	v_fma_f64 v[9:10], v[31:32], v[9:10], -v[11:12]
	v_fma_f64 v[11:12], v[33:34], v[13:14], v[15:16]
	v_add_f64 v[13:14], v[17:18], v[21:22]
	v_add_f64 v[39:40], v[19:20], v[1:2]
	v_add_f64 v[29:30], v[21:22], -v[3:4]
	v_add_f64 v[35:36], v[3:4], -v[21:22]
	v_add_f64 v[15:16], v[3:4], v[7:8]
	v_add_f64 v[54:55], v[1:2], v[23:24]
	;; [unrolled: 1-line block ×3, first 2 shown]
	v_add_f64 v[31:32], v[11:12], -v[7:8]
	v_add_f64 v[33:34], v[21:22], v[11:12]
	v_add_f64 v[25:26], v[1:2], -v[23:24]
	v_add_f64 v[27:28], v[5:6], -v[9:10]
	;; [unrolled: 1-line block ×8, first 2 shown]
	v_add_f64 v[3:4], v[13:14], v[3:4]
	v_fma_f64 v[13:14], v[15:16], -0.5, v[17:18]
	v_add_f64 v[15:16], v[29:30], v[31:32]
	v_add_f64 v[5:6], v[39:40], v[5:6]
	v_fma_f64 v[31:32], v[41:42], -0.5, v[19:20]
	v_fma_f64 v[17:18], v[33:34], -0.5, v[17:18]
	;; [unrolled: 1-line block ×3, first 2 shown]
	v_add_f64 v[52:53], v[23:24], -v[9:10]
	v_add_f64 v[29:30], v[35:36], v[37:38]
	v_add_f64 v[35:36], v[1:2], v[56:57]
	;; [unrolled: 1-line block ×3, first 2 shown]
	v_fma_f64 v[3:4], v[25:26], s[6:7], v[13:14]
	v_fma_f64 v[7:8], v[25:26], s[12:13], v[13:14]
	v_add_f64 v[5:6], v[5:6], v[9:10]
	v_fma_f64 v[9:10], v[21:22], s[12:13], v[31:32]
	v_fma_f64 v[13:14], v[27:28], s[12:13], v[17:18]
	;; [unrolled: 1-line block ×6, first 2 shown]
	v_add_f64 v[33:34], v[50:51], v[52:53]
	v_add_f64 v[1:2], v[1:2], v[11:12]
	v_fma_f64 v[11:12], v[27:28], s[4:5], v[3:4]
	v_fma_f64 v[7:8], v[27:28], s[10:11], v[7:8]
	v_add_f64 v[3:4], v[5:6], v[23:24]
	v_fma_f64 v[23:24], v[48:49], s[10:11], v[9:10]
	v_fma_f64 v[13:14], v[25:26], s[4:5], v[13:14]
	;; [unrolled: 1-line block ×14, first 2 shown]
	v_add3_u32 v21, 0, v43, v58
	ds_write_b128 v21, v[1:4]
	ds_write_b128 v21, v[5:8] offset:176
	ds_write_b128 v21, v[13:16] offset:352
	;; [unrolled: 1-line block ×4, first 2 shown]
	s_waitcnt lgkmcnt(0)
	; wave barrier
	s_waitcnt lgkmcnt(0)
	s_and_saveexec_b64 s[14:15], vcc
	s_cbranch_execz .LBB0_17
; %bb.16:
	v_lshlrev_b32_e32 v36, 2, v46
	v_mov_b32_e32 v37, 0
	v_lshlrev_b64 v[1:2], 4, v[36:37]
	v_mov_b32_e32 v3, s9
	v_add_co_u32_e32 v17, vcc, s8, v1
	v_addc_co_u32_e32 v18, vcc, v3, v2, vcc
	global_load_dwordx4 v[1:4], v[17:18], off offset:720
	global_load_dwordx4 v[5:8], v[17:18], off offset:704
	;; [unrolled: 1-line block ×4, first 2 shown]
	ds_read_b128 v[17:20], v0 offset:1760
	ds_read_b128 v[21:24], v0 offset:2640
	;; [unrolled: 1-line block ×4, first 2 shown]
	ds_read_b128 v[33:36], v0
	v_lshlrev_b64 v[38:39], 4, v[44:45]
	v_mov_b32_e32 v46, s3
	v_mov_b32_e32 v48, v37
	v_add_co_u32_e32 v57, vcc, s2, v38
	v_addc_co_u32_e32 v58, vcc, v46, v39, vcc
	s_waitcnt vmcnt(3) lgkmcnt(4)
	v_mul_f64 v[40:41], v[3:4], v[17:18]
	s_waitcnt vmcnt(2) lgkmcnt(1)
	v_mul_f64 v[42:43], v[7:8], v[29:30]
	s_waitcnt vmcnt(1)
	v_mul_f64 v[44:45], v[11:12], v[21:22]
	s_waitcnt vmcnt(0)
	v_mul_f64 v[49:50], v[15:16], v[25:26]
	v_mul_f64 v[17:18], v[1:2], v[17:18]
	;; [unrolled: 1-line block ×5, first 2 shown]
	v_fma_f64 v[0:1], v[1:2], v[19:20], -v[40:41]
	v_fma_f64 v[5:6], v[5:6], v[31:32], -v[42:43]
	;; [unrolled: 1-line block ×4, first 2 shown]
	v_fma_f64 v[2:3], v[19:20], v[3:4], v[17:18]
	v_fma_f64 v[11:12], v[23:24], v[11:12], v[21:22]
	;; [unrolled: 1-line block ×4, first 2 shown]
	v_lshlrev_b64 v[20:21], 4, v[47:48]
	v_add_f64 v[17:18], v[0:1], -v[5:6]
	v_add_f64 v[30:31], v[5:6], -v[0:1]
	;; [unrolled: 1-line block ×3, first 2 shown]
	v_add_f64 v[26:27], v[5:6], v[13:14]
	v_add_f64 v[37:38], v[13:14], -v[9:10]
	v_add_f64 v[39:40], v[0:1], v[9:10]
	v_add_f64 v[47:48], v[7:8], v[15:16]
	;; [unrolled: 1-line block ×3, first 2 shown]
	s_waitcnt lgkmcnt(0)
	v_add_f64 v[41:42], v[5:6], v[35:36]
	v_add_f64 v[28:29], v[7:8], -v[15:16]
	v_add_f64 v[43:44], v[2:3], -v[7:8]
	;; [unrolled: 1-line block ×4, first 2 shown]
	v_add_f64 v[6:7], v[7:8], v[33:34]
	v_add_f64 v[24:25], v[2:3], -v[11:12]
	v_add_f64 v[45:46], v[11:12], -v[15:16]
	v_add_f64 v[17:18], v[17:18], v[22:23]
	v_fma_f64 v[22:23], v[26:27], -0.5, v[35:36]
	v_add_f64 v[26:27], v[30:31], v[37:38]
	v_fma_f64 v[30:31], v[39:40], -0.5, v[35:36]
	v_fma_f64 v[37:38], v[47:48], -0.5, v[33:34]
	;; [unrolled: 1-line block ×3, first 2 shown]
	v_add_f64 v[49:50], v[0:1], -v[9:10]
	v_add_f64 v[0:1], v[0:1], v[41:42]
	v_add_f64 v[2:3], v[2:3], v[6:7]
	v_add_f64 v[53:54], v[15:16], -v[11:12]
	v_add_f64 v[35:36], v[43:44], v[45:46]
	v_fma_f64 v[6:7], v[24:25], s[12:13], v[22:23]
	v_fma_f64 v[22:23], v[24:25], s[6:7], v[22:23]
	;; [unrolled: 1-line block ×6, first 2 shown]
	v_add_f64 v[0:1], v[9:10], v[0:1]
	v_fma_f64 v[8:9], v[49:50], s[6:7], v[37:38]
	v_fma_f64 v[37:38], v[49:50], s[12:13], v[37:38]
	v_add_f64 v[10:11], v[11:12], v[2:3]
	v_add_f64 v[39:40], v[51:52], v[53:54]
	v_fma_f64 v[6:7], v[28:29], s[4:5], v[6:7]
	v_fma_f64 v[22:23], v[28:29], s[10:11], v[22:23]
	;; [unrolled: 1-line block ×5, first 2 shown]
	v_add_f64 v[2:3], v[13:14], v[0:1]
	v_fma_f64 v[8:9], v[4:5], s[10:11], v[8:9]
	v_fma_f64 v[12:13], v[4:5], s[4:5], v[37:38]
	;; [unrolled: 1-line block ×3, first 2 shown]
	v_add_f64 v[0:1], v[15:16], v[10:11]
	v_fma_f64 v[6:7], v[17:18], s[0:1], v[6:7]
	v_fma_f64 v[10:11], v[17:18], s[0:1], v[22:23]
	;; [unrolled: 1-line block ×8, first 2 shown]
	v_add_co_u32_e32 v20, vcc, v57, v20
	v_addc_co_u32_e32 v21, vcc, v58, v21, vcc
	global_store_dwordx4 v[20:21], v[0:3], off
	global_store_dwordx4 v[20:21], v[16:19], off offset:880
	global_store_dwordx4 v[20:21], v[8:11], off offset:1760
	;; [unrolled: 1-line block ×4, first 2 shown]
.LBB0_17:
	s_endpgm
	.section	.rodata,"a",@progbits
	.p2align	6, 0x0
	.amdhsa_kernel fft_rtc_back_len275_factors_11_5_5_wgs_55_tpt_55_dp_ip_CI_unitstride_sbrr_dirReg
		.amdhsa_group_segment_fixed_size 0
		.amdhsa_private_segment_fixed_size 0
		.amdhsa_kernarg_size 88
		.amdhsa_user_sgpr_count 6
		.amdhsa_user_sgpr_private_segment_buffer 1
		.amdhsa_user_sgpr_dispatch_ptr 0
		.amdhsa_user_sgpr_queue_ptr 0
		.amdhsa_user_sgpr_kernarg_segment_ptr 1
		.amdhsa_user_sgpr_dispatch_id 0
		.amdhsa_user_sgpr_flat_scratch_init 0
		.amdhsa_user_sgpr_private_segment_size 0
		.amdhsa_uses_dynamic_stack 0
		.amdhsa_system_sgpr_private_segment_wavefront_offset 0
		.amdhsa_system_sgpr_workgroup_id_x 1
		.amdhsa_system_sgpr_workgroup_id_y 0
		.amdhsa_system_sgpr_workgroup_id_z 0
		.amdhsa_system_sgpr_workgroup_info 0
		.amdhsa_system_vgpr_workitem_id 0
		.amdhsa_next_free_vgpr 102
		.amdhsa_next_free_sgpr 38
		.amdhsa_reserve_vcc 1
		.amdhsa_reserve_flat_scratch 0
		.amdhsa_float_round_mode_32 0
		.amdhsa_float_round_mode_16_64 0
		.amdhsa_float_denorm_mode_32 3
		.amdhsa_float_denorm_mode_16_64 3
		.amdhsa_dx10_clamp 1
		.amdhsa_ieee_mode 1
		.amdhsa_fp16_overflow 0
		.amdhsa_exception_fp_ieee_invalid_op 0
		.amdhsa_exception_fp_denorm_src 0
		.amdhsa_exception_fp_ieee_div_zero 0
		.amdhsa_exception_fp_ieee_overflow 0
		.amdhsa_exception_fp_ieee_underflow 0
		.amdhsa_exception_fp_ieee_inexact 0
		.amdhsa_exception_int_div_zero 0
	.end_amdhsa_kernel
	.text
.Lfunc_end0:
	.size	fft_rtc_back_len275_factors_11_5_5_wgs_55_tpt_55_dp_ip_CI_unitstride_sbrr_dirReg, .Lfunc_end0-fft_rtc_back_len275_factors_11_5_5_wgs_55_tpt_55_dp_ip_CI_unitstride_sbrr_dirReg
                                        ; -- End function
	.section	.AMDGPU.csdata,"",@progbits
; Kernel info:
; codeLenInByte = 5656
; NumSgprs: 42
; NumVgprs: 102
; ScratchSize: 0
; MemoryBound: 1
; FloatMode: 240
; IeeeMode: 1
; LDSByteSize: 0 bytes/workgroup (compile time only)
; SGPRBlocks: 5
; VGPRBlocks: 25
; NumSGPRsForWavesPerEU: 42
; NumVGPRsForWavesPerEU: 102
; Occupancy: 2
; WaveLimiterHint : 1
; COMPUTE_PGM_RSRC2:SCRATCH_EN: 0
; COMPUTE_PGM_RSRC2:USER_SGPR: 6
; COMPUTE_PGM_RSRC2:TRAP_HANDLER: 0
; COMPUTE_PGM_RSRC2:TGID_X_EN: 1
; COMPUTE_PGM_RSRC2:TGID_Y_EN: 0
; COMPUTE_PGM_RSRC2:TGID_Z_EN: 0
; COMPUTE_PGM_RSRC2:TIDIG_COMP_CNT: 0
	.type	__hip_cuid_dfc5fc6ed6175423,@object ; @__hip_cuid_dfc5fc6ed6175423
	.section	.bss,"aw",@nobits
	.globl	__hip_cuid_dfc5fc6ed6175423
__hip_cuid_dfc5fc6ed6175423:
	.byte	0                               ; 0x0
	.size	__hip_cuid_dfc5fc6ed6175423, 1

	.ident	"AMD clang version 19.0.0git (https://github.com/RadeonOpenCompute/llvm-project roc-6.4.0 25133 c7fe45cf4b819c5991fe208aaa96edf142730f1d)"
	.section	".note.GNU-stack","",@progbits
	.addrsig
	.addrsig_sym __hip_cuid_dfc5fc6ed6175423
	.amdgpu_metadata
---
amdhsa.kernels:
  - .args:
      - .actual_access:  read_only
        .address_space:  global
        .offset:         0
        .size:           8
        .value_kind:     global_buffer
      - .offset:         8
        .size:           8
        .value_kind:     by_value
      - .actual_access:  read_only
        .address_space:  global
        .offset:         16
        .size:           8
        .value_kind:     global_buffer
      - .actual_access:  read_only
        .address_space:  global
        .offset:         24
        .size:           8
        .value_kind:     global_buffer
      - .offset:         32
        .size:           8
        .value_kind:     by_value
      - .actual_access:  read_only
        .address_space:  global
        .offset:         40
        .size:           8
        .value_kind:     global_buffer
      - .actual_access:  read_only
        .address_space:  global
        .offset:         48
        .size:           8
        .value_kind:     global_buffer
      - .offset:         56
        .size:           4
        .value_kind:     by_value
      - .actual_access:  read_only
        .address_space:  global
        .offset:         64
        .size:           8
        .value_kind:     global_buffer
      - .actual_access:  read_only
        .address_space:  global
        .offset:         72
        .size:           8
        .value_kind:     global_buffer
      - .address_space:  global
        .offset:         80
        .size:           8
        .value_kind:     global_buffer
    .group_segment_fixed_size: 0
    .kernarg_segment_align: 8
    .kernarg_segment_size: 88
    .language:       OpenCL C
    .language_version:
      - 2
      - 0
    .max_flat_workgroup_size: 55
    .name:           fft_rtc_back_len275_factors_11_5_5_wgs_55_tpt_55_dp_ip_CI_unitstride_sbrr_dirReg
    .private_segment_fixed_size: 0
    .sgpr_count:     42
    .sgpr_spill_count: 0
    .symbol:         fft_rtc_back_len275_factors_11_5_5_wgs_55_tpt_55_dp_ip_CI_unitstride_sbrr_dirReg.kd
    .uniform_work_group_size: 1
    .uses_dynamic_stack: false
    .vgpr_count:     102
    .vgpr_spill_count: 0
    .wavefront_size: 64
amdhsa.target:   amdgcn-amd-amdhsa--gfx906
amdhsa.version:
  - 1
  - 2
...

	.end_amdgpu_metadata
